;; amdgpu-corpus repo=ROCm/rocFFT kind=compiled arch=gfx1201 opt=O3
	.text
	.amdgcn_target "amdgcn-amd-amdhsa--gfx1201"
	.amdhsa_code_object_version 6
	.protected	fft_rtc_fwd_len605_factors_11_5_11_wgs_55_tpt_55_half_op_CI_CI_unitstride_sbrr_dirReg ; -- Begin function fft_rtc_fwd_len605_factors_11_5_11_wgs_55_tpt_55_half_op_CI_CI_unitstride_sbrr_dirReg
	.globl	fft_rtc_fwd_len605_factors_11_5_11_wgs_55_tpt_55_half_op_CI_CI_unitstride_sbrr_dirReg
	.p2align	8
	.type	fft_rtc_fwd_len605_factors_11_5_11_wgs_55_tpt_55_half_op_CI_CI_unitstride_sbrr_dirReg,@function
fft_rtc_fwd_len605_factors_11_5_11_wgs_55_tpt_55_half_op_CI_CI_unitstride_sbrr_dirReg: ; @fft_rtc_fwd_len605_factors_11_5_11_wgs_55_tpt_55_half_op_CI_CI_unitstride_sbrr_dirReg
; %bb.0:
	s_clause 0x2
	s_load_b128 s[8:11], s[0:1], 0x0
	s_load_b128 s[4:7], s[0:1], 0x58
	;; [unrolled: 1-line block ×3, first 2 shown]
	v_mul_u32_u24_e32 v1, 0x4a8, v0
	v_mov_b32_e32 v8, 0
	v_mov_b32_e32 v9, 0
	s_delay_alu instid0(VALU_DEP_3) | instskip(NEXT) | instid1(VALU_DEP_1)
	v_lshrrev_b32_e32 v1, 16, v1
	v_dual_mov_b32 v3, 0 :: v_dual_add_nc_u32 v10, ttmp9, v1
	s_delay_alu instid0(VALU_DEP_1) | instskip(SKIP_2) | instid1(VALU_DEP_1)
	v_mov_b32_e32 v11, v3
	s_wait_kmcnt 0x0
	v_cmp_lt_u64_e64 s2, s[10:11], 2
	s_and_b32 vcc_lo, exec_lo, s2
	s_cbranch_vccnz .LBB0_8
; %bb.1:
	s_load_b64 s[2:3], s[0:1], 0x10
	v_mov_b32_e32 v8, 0
	v_mov_b32_e32 v9, 0
	s_delay_alu instid0(VALU_DEP_2)
	v_mov_b32_e32 v1, v8
	s_add_nc_u64 s[16:17], s[14:15], 8
	s_add_nc_u64 s[18:19], s[12:13], 8
	s_mov_b64 s[20:21], 1
	v_mov_b32_e32 v2, v9
	s_wait_kmcnt 0x0
	s_add_nc_u64 s[22:23], s[2:3], 8
	s_mov_b32 s3, 0
.LBB0_2:                                ; =>This Inner Loop Header: Depth=1
	s_load_b64 s[24:25], s[22:23], 0x0
                                        ; implicit-def: $vgpr5_vgpr6
	s_mov_b32 s2, exec_lo
	s_wait_kmcnt 0x0
	v_or_b32_e32 v4, s25, v11
	s_delay_alu instid0(VALU_DEP_1)
	v_cmpx_ne_u64_e32 0, v[3:4]
	s_wait_alu 0xfffe
	s_xor_b32 s26, exec_lo, s2
	s_cbranch_execz .LBB0_4
; %bb.3:                                ;   in Loop: Header=BB0_2 Depth=1
	s_cvt_f32_u32 s2, s24
	s_cvt_f32_u32 s27, s25
	s_sub_nc_u64 s[30:31], 0, s[24:25]
	s_wait_alu 0xfffe
	s_delay_alu instid0(SALU_CYCLE_1) | instskip(SKIP_1) | instid1(SALU_CYCLE_2)
	s_fmamk_f32 s2, s27, 0x4f800000, s2
	s_wait_alu 0xfffe
	v_s_rcp_f32 s2, s2
	s_delay_alu instid0(TRANS32_DEP_1) | instskip(SKIP_1) | instid1(SALU_CYCLE_2)
	s_mul_f32 s2, s2, 0x5f7ffffc
	s_wait_alu 0xfffe
	s_mul_f32 s27, s2, 0x2f800000
	s_wait_alu 0xfffe
	s_delay_alu instid0(SALU_CYCLE_2) | instskip(SKIP_1) | instid1(SALU_CYCLE_2)
	s_trunc_f32 s27, s27
	s_wait_alu 0xfffe
	s_fmamk_f32 s2, s27, 0xcf800000, s2
	s_cvt_u32_f32 s29, s27
	s_wait_alu 0xfffe
	s_delay_alu instid0(SALU_CYCLE_1) | instskip(SKIP_1) | instid1(SALU_CYCLE_2)
	s_cvt_u32_f32 s28, s2
	s_wait_alu 0xfffe
	s_mul_u64 s[34:35], s[30:31], s[28:29]
	s_wait_alu 0xfffe
	s_mul_hi_u32 s37, s28, s35
	s_mul_i32 s36, s28, s35
	s_mul_hi_u32 s2, s28, s34
	s_mul_i32 s33, s29, s34
	s_wait_alu 0xfffe
	s_add_nc_u64 s[36:37], s[2:3], s[36:37]
	s_mul_hi_u32 s27, s29, s34
	s_mul_hi_u32 s38, s29, s35
	s_add_co_u32 s2, s36, s33
	s_wait_alu 0xfffe
	s_add_co_ci_u32 s2, s37, s27
	s_mul_i32 s34, s29, s35
	s_add_co_ci_u32 s35, s38, 0
	s_wait_alu 0xfffe
	s_add_nc_u64 s[34:35], s[2:3], s[34:35]
	s_wait_alu 0xfffe
	v_add_co_u32 v4, s2, s28, s34
	s_delay_alu instid0(VALU_DEP_1) | instskip(SKIP_1) | instid1(VALU_DEP_1)
	s_cmp_lg_u32 s2, 0
	s_add_co_ci_u32 s29, s29, s35
	v_readfirstlane_b32 s28, v4
	s_wait_alu 0xfffe
	s_delay_alu instid0(VALU_DEP_1)
	s_mul_u64 s[30:31], s[30:31], s[28:29]
	s_wait_alu 0xfffe
	s_mul_hi_u32 s35, s28, s31
	s_mul_i32 s34, s28, s31
	s_mul_hi_u32 s2, s28, s30
	s_mul_i32 s33, s29, s30
	s_wait_alu 0xfffe
	s_add_nc_u64 s[34:35], s[2:3], s[34:35]
	s_mul_hi_u32 s27, s29, s30
	s_mul_hi_u32 s28, s29, s31
	s_wait_alu 0xfffe
	s_add_co_u32 s2, s34, s33
	s_add_co_ci_u32 s2, s35, s27
	s_mul_i32 s30, s29, s31
	s_add_co_ci_u32 s31, s28, 0
	s_wait_alu 0xfffe
	s_add_nc_u64 s[30:31], s[2:3], s[30:31]
	s_wait_alu 0xfffe
	v_add_co_u32 v6, s2, v4, s30
	s_delay_alu instid0(VALU_DEP_1) | instskip(SKIP_1) | instid1(VALU_DEP_1)
	s_cmp_lg_u32 s2, 0
	s_add_co_ci_u32 s2, s29, s31
	v_mul_hi_u32 v14, v10, v6
	s_wait_alu 0xfffe
	v_mad_co_u64_u32 v[4:5], null, v10, s2, 0
	v_mad_co_u64_u32 v[6:7], null, v11, v6, 0
	;; [unrolled: 1-line block ×3, first 2 shown]
	s_delay_alu instid0(VALU_DEP_3) | instskip(SKIP_1) | instid1(VALU_DEP_4)
	v_add_co_u32 v4, vcc_lo, v14, v4
	s_wait_alu 0xfffd
	v_add_co_ci_u32_e32 v5, vcc_lo, 0, v5, vcc_lo
	s_delay_alu instid0(VALU_DEP_2) | instskip(SKIP_1) | instid1(VALU_DEP_2)
	v_add_co_u32 v4, vcc_lo, v4, v6
	s_wait_alu 0xfffd
	v_add_co_ci_u32_e32 v4, vcc_lo, v5, v7, vcc_lo
	s_wait_alu 0xfffd
	v_add_co_ci_u32_e32 v5, vcc_lo, 0, v13, vcc_lo
	s_delay_alu instid0(VALU_DEP_2) | instskip(SKIP_1) | instid1(VALU_DEP_2)
	v_add_co_u32 v7, vcc_lo, v4, v12
	s_wait_alu 0xfffd
	v_add_co_ci_u32_e32 v6, vcc_lo, 0, v5, vcc_lo
	s_delay_alu instid0(VALU_DEP_2) | instskip(SKIP_1) | instid1(VALU_DEP_3)
	v_mul_lo_u32 v12, s25, v7
	v_mad_co_u64_u32 v[4:5], null, s24, v7, 0
	v_mul_lo_u32 v13, s24, v6
	s_delay_alu instid0(VALU_DEP_2) | instskip(NEXT) | instid1(VALU_DEP_2)
	v_sub_co_u32 v4, vcc_lo, v10, v4
	v_add3_u32 v5, v5, v13, v12
	s_delay_alu instid0(VALU_DEP_1) | instskip(SKIP_1) | instid1(VALU_DEP_1)
	v_sub_nc_u32_e32 v12, v11, v5
	s_wait_alu 0xfffd
	v_subrev_co_ci_u32_e64 v12, s2, s25, v12, vcc_lo
	v_add_co_u32 v13, s2, v7, 2
	s_wait_alu 0xf1ff
	v_add_co_ci_u32_e64 v14, s2, 0, v6, s2
	v_sub_co_u32 v15, s2, v4, s24
	v_sub_co_ci_u32_e32 v5, vcc_lo, v11, v5, vcc_lo
	s_wait_alu 0xf1ff
	v_subrev_co_ci_u32_e64 v12, s2, 0, v12, s2
	s_delay_alu instid0(VALU_DEP_3) | instskip(NEXT) | instid1(VALU_DEP_3)
	v_cmp_le_u32_e32 vcc_lo, s24, v15
	v_cmp_eq_u32_e64 s2, s25, v5
	s_wait_alu 0xfffd
	v_cndmask_b32_e64 v15, 0, -1, vcc_lo
	v_cmp_le_u32_e32 vcc_lo, s25, v12
	s_wait_alu 0xfffd
	v_cndmask_b32_e64 v16, 0, -1, vcc_lo
	v_cmp_le_u32_e32 vcc_lo, s24, v4
	;; [unrolled: 3-line block ×3, first 2 shown]
	s_wait_alu 0xfffd
	v_cndmask_b32_e64 v17, 0, -1, vcc_lo
	v_cmp_eq_u32_e32 vcc_lo, s25, v12
	s_wait_alu 0xf1ff
	s_delay_alu instid0(VALU_DEP_2)
	v_cndmask_b32_e64 v4, v17, v4, s2
	s_wait_alu 0xfffd
	v_cndmask_b32_e32 v12, v16, v15, vcc_lo
	v_add_co_u32 v15, vcc_lo, v7, 1
	s_wait_alu 0xfffd
	v_add_co_ci_u32_e32 v16, vcc_lo, 0, v6, vcc_lo
	s_delay_alu instid0(VALU_DEP_3) | instskip(SKIP_1) | instid1(VALU_DEP_2)
	v_cmp_ne_u32_e32 vcc_lo, 0, v12
	s_wait_alu 0xfffd
	v_dual_cndmask_b32 v5, v16, v14 :: v_dual_cndmask_b32 v12, v15, v13
	v_cmp_ne_u32_e32 vcc_lo, 0, v4
	s_wait_alu 0xfffd
	s_delay_alu instid0(VALU_DEP_2)
	v_dual_cndmask_b32 v6, v6, v5 :: v_dual_cndmask_b32 v5, v7, v12
.LBB0_4:                                ;   in Loop: Header=BB0_2 Depth=1
	s_wait_alu 0xfffe
	s_and_not1_saveexec_b32 s2, s26
	s_cbranch_execz .LBB0_6
; %bb.5:                                ;   in Loop: Header=BB0_2 Depth=1
	v_cvt_f32_u32_e32 v4, s24
	s_sub_co_i32 s26, 0, s24
	s_delay_alu instid0(VALU_DEP_1) | instskip(NEXT) | instid1(TRANS32_DEP_1)
	v_rcp_iflag_f32_e32 v4, v4
	v_mul_f32_e32 v4, 0x4f7ffffe, v4
	s_delay_alu instid0(VALU_DEP_1) | instskip(SKIP_1) | instid1(VALU_DEP_1)
	v_cvt_u32_f32_e32 v4, v4
	s_wait_alu 0xfffe
	v_mul_lo_u32 v5, s26, v4
	s_delay_alu instid0(VALU_DEP_1) | instskip(NEXT) | instid1(VALU_DEP_1)
	v_mul_hi_u32 v5, v4, v5
	v_add_nc_u32_e32 v4, v4, v5
	s_delay_alu instid0(VALU_DEP_1) | instskip(NEXT) | instid1(VALU_DEP_1)
	v_mul_hi_u32 v4, v10, v4
	v_mul_lo_u32 v5, v4, s24
	v_add_nc_u32_e32 v6, 1, v4
	s_delay_alu instid0(VALU_DEP_2) | instskip(NEXT) | instid1(VALU_DEP_1)
	v_sub_nc_u32_e32 v5, v10, v5
	v_subrev_nc_u32_e32 v7, s24, v5
	v_cmp_le_u32_e32 vcc_lo, s24, v5
	s_wait_alu 0xfffd
	s_delay_alu instid0(VALU_DEP_2) | instskip(NEXT) | instid1(VALU_DEP_1)
	v_dual_cndmask_b32 v5, v5, v7 :: v_dual_cndmask_b32 v4, v4, v6
	v_cmp_le_u32_e32 vcc_lo, s24, v5
	s_delay_alu instid0(VALU_DEP_2) | instskip(SKIP_1) | instid1(VALU_DEP_1)
	v_add_nc_u32_e32 v6, 1, v4
	s_wait_alu 0xfffd
	v_dual_cndmask_b32 v5, v4, v6 :: v_dual_mov_b32 v6, v3
.LBB0_6:                                ;   in Loop: Header=BB0_2 Depth=1
	s_wait_alu 0xfffe
	s_or_b32 exec_lo, exec_lo, s2
	s_delay_alu instid0(VALU_DEP_1) | instskip(NEXT) | instid1(VALU_DEP_2)
	v_mul_lo_u32 v4, v6, s24
	v_mul_lo_u32 v7, v5, s25
	s_load_b64 s[26:27], s[18:19], 0x0
	v_mad_co_u64_u32 v[12:13], null, v5, s24, 0
	s_load_b64 s[24:25], s[16:17], 0x0
	s_add_nc_u64 s[20:21], s[20:21], 1
	s_add_nc_u64 s[16:17], s[16:17], 8
	s_wait_alu 0xfffe
	v_cmp_ge_u64_e64 s2, s[20:21], s[10:11]
	s_add_nc_u64 s[18:19], s[18:19], 8
	s_add_nc_u64 s[22:23], s[22:23], 8
	v_add3_u32 v4, v13, v7, v4
	v_sub_co_u32 v7, vcc_lo, v10, v12
	s_wait_alu 0xfffd
	s_delay_alu instid0(VALU_DEP_2) | instskip(SKIP_2) | instid1(VALU_DEP_1)
	v_sub_co_ci_u32_e32 v4, vcc_lo, v11, v4, vcc_lo
	s_and_b32 vcc_lo, exec_lo, s2
	s_wait_kmcnt 0x0
	v_mul_lo_u32 v10, s26, v4
	v_mul_lo_u32 v11, s27, v7
	v_mad_co_u64_u32 v[8:9], null, s26, v7, v[8:9]
	v_mul_lo_u32 v4, s24, v4
	v_mul_lo_u32 v12, s25, v7
	v_mad_co_u64_u32 v[1:2], null, s24, v7, v[1:2]
	s_delay_alu instid0(VALU_DEP_4) | instskip(NEXT) | instid1(VALU_DEP_2)
	v_add3_u32 v9, v11, v9, v10
	v_add3_u32 v2, v12, v2, v4
	s_wait_alu 0xfffe
	s_cbranch_vccnz .LBB0_9
; %bb.7:                                ;   in Loop: Header=BB0_2 Depth=1
	v_dual_mov_b32 v11, v6 :: v_dual_mov_b32 v10, v5
	s_branch .LBB0_2
.LBB0_8:
	v_dual_mov_b32 v1, v8 :: v_dual_mov_b32 v2, v9
	v_dual_mov_b32 v5, v10 :: v_dual_mov_b32 v6, v11
.LBB0_9:
	s_load_b64 s[0:1], s[0:1], 0x28
	v_mul_hi_u32 v31, 0x4a7904b, v0
	s_lshl_b64 s[10:11], s[10:11], 3
                                        ; implicit-def: $sgpr16
                                        ; implicit-def: $sgpr2_sgpr3
                                        ; implicit-def: $vgpr7
	s_wait_kmcnt 0x0
	v_cmp_gt_u64_e32 vcc_lo, s[0:1], v[5:6]
	v_cmp_le_u64_e64 s0, s[0:1], v[5:6]
	s_delay_alu instid0(VALU_DEP_1)
	s_and_saveexec_b32 s1, s0
	s_wait_alu 0xfffe
	s_xor_b32 s0, exec_lo, s1
; %bb.10:
	v_mul_u32_u24_e32 v3, 55, v31
	s_mov_b64 s[2:3], 0
	s_mov_b32 s16, 0
                                        ; implicit-def: $vgpr31
                                        ; implicit-def: $vgpr8_vgpr9
	s_delay_alu instid0(VALU_DEP_1)
	v_sub_nc_u32_e32 v7, v0, v3
                                        ; implicit-def: $vgpr0
; %bb.11:
	s_wait_alu 0xfffe
	s_or_saveexec_b32 s1, s0
	v_dual_mov_b32 v4, s3 :: v_dual_mov_b32 v3, s2
	v_mov_b32_e32 v22, s16
	s_add_nc_u64 s[2:3], s[14:15], s[10:11]
                                        ; implicit-def: $vgpr30
                                        ; implicit-def: $vgpr29
                                        ; implicit-def: $vgpr24
                                        ; implicit-def: $vgpr23
                                        ; implicit-def: $vgpr19
                                        ; implicit-def: $vgpr18
                                        ; implicit-def: $vgpr16
                                        ; implicit-def: $vgpr14
                                        ; implicit-def: $vgpr12
                                        ; implicit-def: $vgpr10
                                        ; implicit-def: $vgpr28
                                        ; implicit-def: $vgpr27
                                        ; implicit-def: $vgpr26
                                        ; implicit-def: $vgpr25
                                        ; implicit-def: $vgpr21
                                        ; implicit-def: $vgpr20
                                        ; implicit-def: $vgpr17
                                        ; implicit-def: $vgpr15
                                        ; implicit-def: $vgpr13
                                        ; implicit-def: $vgpr11
	s_wait_alu 0xfffe
	s_xor_b32 exec_lo, exec_lo, s1
	s_cbranch_execz .LBB0_13
; %bb.12:
	s_add_nc_u64 s[10:11], s[12:13], s[10:11]
	v_lshlrev_b64_e32 v[8:9], 2, v[8:9]
	s_load_b64 s[10:11], s[10:11], 0x0
	s_wait_kmcnt 0x0
	v_mul_lo_u32 v7, s11, v5
	v_mul_lo_u32 v10, s10, v6
	v_mad_co_u64_u32 v[3:4], null, s10, v5, 0
	s_delay_alu instid0(VALU_DEP_1) | instskip(SKIP_1) | instid1(VALU_DEP_2)
	v_add3_u32 v4, v4, v10, v7
	v_mul_u32_u24_e32 v7, 55, v31
	v_lshlrev_b64_e32 v[3:4], 2, v[3:4]
	s_delay_alu instid0(VALU_DEP_2) | instskip(NEXT) | instid1(VALU_DEP_2)
	v_sub_nc_u32_e32 v7, v0, v7
	v_add_co_u32 v0, s0, s4, v3
	s_wait_alu 0xf1ff
	s_delay_alu instid0(VALU_DEP_3) | instskip(NEXT) | instid1(VALU_DEP_3)
	v_add_co_ci_u32_e64 v3, s0, s5, v4, s0
	v_lshlrev_b32_e32 v4, 2, v7
	s_delay_alu instid0(VALU_DEP_3) | instskip(SKIP_1) | instid1(VALU_DEP_3)
	v_add_co_u32 v0, s0, v0, v8
	s_wait_alu 0xf1ff
	v_add_co_ci_u32_e64 v8, s0, v3, v9, s0
	s_delay_alu instid0(VALU_DEP_2) | instskip(SKIP_1) | instid1(VALU_DEP_2)
	v_add_co_u32 v3, s0, v0, v4
	s_wait_alu 0xf1ff
	v_add_co_ci_u32_e64 v4, s0, 0, v8, s0
	v_mov_b32_e32 v8, 0
	s_clause 0xa
	global_load_b32 v29, v[3:4], off offset:220
	global_load_b32 v23, v[3:4], off offset:440
	;; [unrolled: 1-line block ×10, first 2 shown]
	global_load_b32 v22, v[3:4], off
	v_dual_mov_b32 v3, v7 :: v_dual_mov_b32 v4, v8
	s_wait_loadcnt 0xa
	v_lshrrev_b32_e32 v30, 16, v29
	s_wait_loadcnt 0x9
	v_lshrrev_b32_e32 v24, 16, v23
	;; [unrolled: 2-line block ×10, first 2 shown]
.LBB0_13:
	s_or_b32 exec_lo, exec_lo, s1
	s_wait_loadcnt 0x0
	v_lshrrev_b32_e32 v0, 16, v22
	v_add_f16_e32 v8, v29, v22
	v_add_f16_e32 v9, v29, v27
	;; [unrolled: 1-line block ×3, first 2 shown]
	v_sub_f16_e32 v29, v29, v27
	v_add_f16_e32 v32, v30, v0
	v_add_f16_e32 v8, v23, v8
	v_sub_f16_e32 v30, v30, v28
	v_mul_f16_e32 v35, 0x36a6, v9
	v_mul_f16_e32 v37, 0xb08e, v9
	v_add_f16_e32 v32, v24, v32
	v_add_f16_e32 v8, v18, v8
	v_mul_f16_e32 v39, 0xb93d, v9
	v_mul_f16_e32 v36, 0xbb47, v29
	;; [unrolled: 1-line block ×3, first 2 shown]
	v_add_f16_e32 v32, v19, v32
	v_add_f16_e32 v8, v14, v8
	v_fmamk_f16 v43, v30, 0x3b47, v35
	v_fmamk_f16 v45, v30, 0x3beb, v37
	;; [unrolled: 1-line block ×3, first 2 shown]
	v_add_f16_e32 v32, v16, v32
	v_add_f16_e32 v8, v10, v8
	v_mul_f16_e32 v33, 0x3abb, v9
	v_mul_f16_e32 v34, 0xb853, v29
	;; [unrolled: 1-line block ×3, first 2 shown]
	v_add_f16_e32 v32, v12, v32
	v_add_f16_e32 v8, v11, v8
	v_fmamk_f16 v44, v31, 0x36a6, v36
	v_fmamk_f16 v46, v31, 0xb08e, v38
	v_fma_f16 v38, v31, 0xb08e, -v38
	v_add_f16_e32 v32, v13, v32
	v_add_f16_e32 v8, v15, v8
	v_mul_f16_e32 v9, 0xbbad, v9
	v_mul_f16_e32 v29, 0xb482, v29
	v_fmamk_f16 v41, v30, 0x3853, v33
	v_add_f16_e32 v32, v17, v32
	v_add_f16_e32 v8, v20, v8
	v_fmamk_f16 v42, v31, 0x3abb, v34
	v_fmac_f16_e32 v33, 0xb853, v30
	v_fma_f16 v34, v31, 0x3abb, -v34
	v_add_f16_e32 v32, v21, v32
	v_add_f16_e32 v8, v25, v8
	v_fmac_f16_e32 v35, 0xbb47, v30
	v_fma_f16 v36, v31, 0x36a6, -v36
	v_fmac_f16_e32 v37, 0xbbeb, v30
	v_add_f16_e32 v32, v26, v32
	v_add_f16_e32 v8, v27, v8
	v_fmac_f16_e32 v39, 0xba0c, v30
	v_fmamk_f16 v48, v31, 0xbbad, v29
	v_fma_f16 v29, v31, 0xbbad, -v29
	v_add_f16_e32 v27, v28, v32
	v_add_f16_e32 v28, v43, v22
	v_and_b32_e32 v8, 0xffff, v8
	v_add_f16_e32 v43, v45, v22
	v_add_f16_e32 v45, v47, v22
	v_lshlrev_b32_e32 v27, 16, v27
	v_add_f16_e32 v47, v23, v25
	v_sub_f16_e32 v23, v23, v25
	v_add_f16_e32 v32, v44, v0
	v_add_f16_e32 v44, v46, v0
	v_or_b32_e32 v27, v27, v8
	v_add_f16_e32 v8, v38, v0
	v_fmamk_f16 v38, v31, 0xb93d, v40
	v_fma_f16 v40, v31, 0xb93d, -v40
	v_fmamk_f16 v46, v30, 0x3482, v9
	v_fmac_f16_e32 v9, 0xb482, v30
	v_sub_f16_e32 v25, v24, v26
	v_mul_f16_e32 v30, 0x36a6, v47
	v_add_f16_e32 v24, v24, v26
	v_mul_f16_e32 v26, 0xbb47, v23
	v_add_f16_e32 v41, v41, v22
	v_add_f16_e32 v42, v42, v0
	;; [unrolled: 1-line block ×12, first 2 shown]
	v_fmamk_f16 v48, v25, 0x3b47, v30
	v_add_f16_e32 v9, v9, v22
	v_add_f16_e32 v0, v29, v0
	v_fmamk_f16 v22, v24, 0x36a6, v26
	v_mul_f16_e32 v29, 0xb93d, v47
	v_fmac_f16_e32 v30, 0xbb47, v25
	v_add_f16_e32 v41, v48, v41
	v_fma_f16 v26, v24, 0x36a6, -v26
	v_add_f16_e32 v22, v22, v42
	v_fmamk_f16 v42, v25, 0x3a0c, v29
	v_mul_f16_e32 v48, 0xba0c, v23
	v_add_f16_e32 v30, v30, v33
	v_mul_f16_e32 v33, 0xbbad, v47
	v_add_f16_e32 v26, v26, v34
	v_add_f16_e32 v28, v42, v28
	v_fmamk_f16 v34, v24, 0xb93d, v48
	v_fmac_f16_e32 v29, 0xba0c, v25
	v_fma_f16 v42, v24, 0xb93d, -v48
	v_fmamk_f16 v48, v25, 0xb482, v33
	v_mul_f16_e32 v49, 0x3482, v23
	v_add_f16_e32 v32, v34, v32
	v_add_f16_e32 v29, v29, v35
	;; [unrolled: 1-line block ×4, first 2 shown]
	v_fmamk_f16 v36, v24, 0xbbad, v49
	v_mul_f16_e32 v42, 0xb08e, v47
	v_fmac_f16_e32 v33, 0x3482, v25
	v_mul_f16_e32 v43, 0x3beb, v23
	v_mul_f16_e32 v47, 0x3abb, v47
	v_add_f16_e32 v36, v36, v44
	v_fmamk_f16 v44, v25, 0xbbeb, v42
	v_add_f16_e32 v33, v33, v37
	v_fmamk_f16 v37, v24, 0xb08e, v43
	v_fmac_f16_e32 v42, 0x3beb, v25
	v_mul_f16_e32 v23, 0x3853, v23
	v_add_f16_e32 v44, v44, v45
	v_sub_f16_e32 v45, v19, v21
	v_add_f16_e32 v37, v37, v38
	v_fma_f16 v38, v24, 0xb08e, -v43
	v_fmamk_f16 v43, v25, 0xb853, v47
	v_add_f16_e32 v39, v42, v39
	v_add_f16_e32 v42, v18, v20
	v_sub_f16_e32 v18, v18, v20
	v_add_f16_e32 v38, v38, v40
	v_add_f16_e32 v40, v43, v46
	v_fmamk_f16 v43, v24, 0x3abb, v23
	v_mul_f16_e32 v46, 0xb08e, v42
	v_fma_f16 v20, v24, 0x3abb, -v23
	v_add_f16_e32 v19, v19, v21
	v_mul_f16_e32 v23, 0xbbeb, v18
	v_fma_f16 v48, v24, 0xbbad, -v49
	v_fmamk_f16 v21, v45, 0x3beb, v46
	v_fmac_f16_e32 v47, 0x3853, v25
	v_add_f16_e32 v24, v43, v31
	v_add_f16_e32 v0, v20, v0
	v_mul_f16_e32 v25, 0xbbad, v42
	v_add_f16_e32 v20, v21, v41
	v_fmamk_f16 v21, v19, 0xb08e, v23
	v_fma_f16 v23, v19, 0xb08e, -v23
	v_mul_f16_e32 v31, 0x3482, v18
	v_mul_f16_e32 v41, 0x36a6, v42
	v_add_f16_e32 v8, v48, v8
	v_add_f16_e32 v21, v21, v22
	v_fmamk_f16 v22, v45, 0xb482, v25
	v_add_f16_e32 v23, v23, v26
	v_fmamk_f16 v26, v19, 0xbbad, v31
	v_fmac_f16_e32 v25, 0x3482, v45
	v_mul_f16_e32 v43, 0xb853, v18
	v_add_f16_e32 v22, v22, v28
	v_fma_f16 v28, v19, 0xbbad, -v31
	v_add_f16_e32 v26, v26, v32
	v_fmamk_f16 v31, v45, 0xbb47, v41
	v_mul_f16_e32 v32, 0x3b47, v18
	v_add_f16_e32 v25, v25, v29
	v_mul_f16_e32 v29, 0x3abb, v42
	v_add_f16_e32 v28, v28, v34
	v_add_f16_e32 v31, v31, v35
	v_fmamk_f16 v34, v19, 0x36a6, v32
	v_fma_f16 v32, v19, 0x36a6, -v32
	v_fmamk_f16 v35, v45, 0x3853, v29
	v_fmac_f16_e32 v29, 0xb853, v45
	v_mul_f16_e32 v18, 0xba0c, v18
	v_add_f16_e32 v34, v34, v36
	v_add_f16_e32 v8, v32, v8
	;; [unrolled: 1-line block ×3, first 2 shown]
	v_fmamk_f16 v35, v19, 0x3abb, v43
	v_mul_f16_e32 v36, 0xb93d, v42
	v_add_f16_e32 v29, v29, v39
	v_add_f16_e32 v39, v14, v15
	v_sub_f16_e32 v14, v14, v15
	v_add_f16_e32 v35, v35, v37
	v_fmamk_f16 v37, v45, 0x3a0c, v36
	v_add_f16_e32 v9, v47, v9
	v_fmac_f16_e32 v41, 0x3b47, v45
	v_fmamk_f16 v42, v19, 0xb93d, v18
	v_sub_f16_e32 v15, v16, v17
	v_add_f16_e32 v37, v37, v40
	v_mul_f16_e32 v40, 0xb93d, v39
	v_fmac_f16_e32 v36, 0xba0c, v45
	v_fma_f16 v18, v19, 0xb93d, -v18
	v_add_f16_e32 v16, v16, v17
	v_mul_f16_e32 v17, 0xba0c, v14
	v_fmac_f16_e32 v46, 0xbbeb, v45
	v_add_f16_e32 v33, v41, v33
	v_fma_f16 v41, v19, 0x3abb, -v43
	v_fmamk_f16 v19, v15, 0x3a0c, v40
	v_add_f16_e32 v9, v36, v9
	v_add_f16_e32 v0, v18, v0
	v_mul_f16_e32 v18, 0xb08e, v39
	v_fmamk_f16 v36, v16, 0xb93d, v17
	v_add_f16_e32 v30, v46, v30
	v_add_f16_e32 v19, v19, v20
	v_fmac_f16_e32 v40, 0xba0c, v15
	v_fma_f16 v17, v16, 0xb93d, -v17
	v_fmamk_f16 v20, v15, 0xbbeb, v18
	v_add_f16_e32 v21, v36, v21
	v_mul_f16_e32 v36, 0x3beb, v14
	v_add_f16_e32 v30, v40, v30
	v_add_f16_e32 v17, v17, v23
	;; [unrolled: 1-line block ×3, first 2 shown]
	v_mul_f16_e32 v22, 0x3abb, v39
	v_fmamk_f16 v23, v16, 0xb08e, v36
	v_fmac_f16_e32 v18, 0x3beb, v15
	v_fma_f16 v36, v16, 0xb08e, -v36
	v_mul_f16_e32 v40, 0xb853, v14
	v_add_f16_e32 v38, v41, v38
	v_fmamk_f16 v41, v15, 0x3853, v22
	v_add_f16_e32 v23, v23, v26
	v_add_f16_e32 v18, v18, v25
	;; [unrolled: 1-line block ×3, first 2 shown]
	v_fmamk_f16 v26, v16, 0x3abb, v40
	v_fma_f16 v36, v16, 0x3abb, -v40
	v_add_f16_e32 v28, v41, v31
	v_mul_f16_e32 v31, 0xbbad, v39
	v_fmac_f16_e32 v22, 0xb853, v15
	v_add_f16_e32 v26, v26, v34
	v_mul_f16_e32 v34, 0xb482, v14
	v_add_f16_e32 v36, v36, v8
	v_mul_f16_e32 v8, 0x36a6, v39
	v_fmamk_f16 v40, v15, 0x3482, v31
	v_add_f16_e32 v33, v22, v33
	v_fmamk_f16 v22, v16, 0xbbad, v34
	v_fmac_f16_e32 v31, 0xb482, v15
	v_fma_f16 v34, v16, 0xbbad, -v34
	v_fmamk_f16 v39, v15, 0xbb47, v8
	v_mul_f16_e32 v14, 0x3b47, v14
	v_add_f16_e32 v24, v42, v24
	v_add_f16_e32 v29, v31, v29
	;; [unrolled: 1-line block ×5, first 2 shown]
	v_sub_f16_e32 v10, v10, v11
	v_add_f16_e32 v35, v22, v35
	v_fmamk_f16 v22, v16, 0x36a6, v14
	v_fmac_f16_e32 v8, 0x3b47, v15
	v_sub_f16_e32 v11, v12, v13
	v_mul_f16_e32 v15, 0xbbad, v37
	v_fma_f16 v14, v16, 0x36a6, -v14
	v_add_f16_e32 v12, v12, v13
	v_mul_f16_e32 v13, 0xb482, v10
	v_add_f16_e32 v16, v22, v24
	v_fmamk_f16 v22, v11, 0x3482, v15
	v_add_f16_e32 v9, v8, v9
	v_add_f16_e32 v0, v14, v0
	v_fmamk_f16 v8, v12, 0xbbad, v13
	v_mul_f16_e32 v14, 0x3abb, v37
	v_fma_f16 v13, v12, 0xbbad, -v13
	v_add_f16_e32 v19, v22, v19
	v_fmac_f16_e32 v15, 0xb482, v11
	v_mul_f16_e32 v38, 0x3853, v10
	v_fmamk_f16 v24, v11, 0xb853, v14
	v_add_f16_e32 v22, v13, v17
	v_mul_f16_e32 v13, 0xb93d, v37
	v_add_f16_e32 v21, v8, v21
	v_add_f16_e32 v8, v15, v30
	v_add_f16_e32 v15, v24, v20
	v_fmamk_f16 v17, v12, 0x3abb, v38
	v_fmac_f16_e32 v14, 0x3853, v11
	v_fma_f16 v20, v12, 0x3abb, -v38
	v_fmamk_f16 v24, v11, 0x3a0c, v13
	v_mul_f16_e32 v30, 0xba0c, v10
	v_add_f16_e32 v17, v17, v23
	v_add_f16_e32 v14, v14, v18
	;; [unrolled: 1-line block ×4, first 2 shown]
	v_fmamk_f16 v23, v12, 0xb93d, v30
	v_mul_f16_e32 v24, 0x36a6, v37
	v_add_f16_e32 v32, v40, v32
	v_mul_f16_e32 v28, 0x3b47, v10
	v_fmac_f16_e32 v13, 0xba0c, v11
	v_add_f16_e32 v23, v23, v26
	v_fmamk_f16 v26, v11, 0xbb47, v24
	v_fmac_f16_e32 v24, 0x3b47, v11
	v_mul_f16_e32 v10, 0xbbeb, v10
	v_fma_f16 v25, v12, 0xb93d, -v30
	v_fmamk_f16 v30, v12, 0x36a6, v28
	v_add_f16_e32 v26, v26, v32
	v_mul_f16_e32 v32, 0xb08e, v37
	v_add_f16_e32 v13, v13, v33
	v_add_f16_e32 v24, v24, v29
	v_fmamk_f16 v33, v12, 0xb08e, v10
	v_fma_f16 v10, v12, 0xb08e, -v10
	v_fmamk_f16 v29, v11, 0x3beb, v32
	v_fmac_f16_e32 v32, 0xbbeb, v11
	v_fma_f16 v28, v12, 0x36a6, -v28
	v_add_f16_e32 v30, v30, v35
	v_add_f16_e32 v16, v33, v16
	v_add_f16_e32 v12, v29, v34
	v_add_f16_e32 v9, v32, v9
	v_add_f16_e32 v0, v10, v0
	v_add_f16_e32 v25, v25, v36
	v_add_f16_e32 v11, v28, v31
	v_mad_u32_u24 v10, v7, 44, 0
	v_pack_b32_f16 v15, v15, v17
	v_pack_b32_f16 v17, v19, v21
	;; [unrolled: 1-line block ×8, first 2 shown]
	s_load_b64 s[2:3], s[2:3], 0x0
	v_pack_b32_f16 v13, v8, v22
	v_pack_b32_f16 v14, v14, v18
	ds_store_b32 v10, v27
	ds_store_2addr_b32 v10, v17, v15 offset0:1 offset1:2
	ds_store_2addr_b32 v10, v20, v19 offset0:3 offset1:4
	;; [unrolled: 1-line block ×5, first 2 shown]
	v_mad_i32_i24 v0, 0xffffffd8, v7, v10
	global_wb scope:SCOPE_SE
	s_wait_dscnt 0x0
	s_wait_kmcnt 0x0
	s_barrier_signal -1
	s_barrier_wait -1
	global_inv scope:SCOPE_SE
	v_add_nc_u32_e32 v9, 0x200, v0
	v_add_nc_u32_e32 v11, 0x400, v0
	;; [unrolled: 1-line block ×3, first 2 shown]
	ds_load_2addr_b32 v[12:13], v0 offset1:55
	ds_load_2addr_b32 v[20:21], v0 offset0:121 offset1:176
	ds_load_2addr_b32 v[18:19], v9 offset0:114 offset1:169
	;; [unrolled: 1-line block ×4, first 2 shown]
	v_mul_i32_i24_e32 v0, 0xffffffd8, v7
	v_cmp_gt_u32_e64 s0, 11, v7
                                        ; implicit-def: $vgpr24
                                        ; implicit-def: $vgpr23
                                        ; implicit-def: $vgpr25
                                        ; implicit-def: $vgpr11
                                        ; implicit-def: $vgpr26
                                        ; implicit-def: $vgpr27
	s_delay_alu instid0(VALU_DEP_2) | instskip(NEXT) | instid1(VALU_DEP_2)
	v_add_nc_u32_e32 v0, v10, v0
	s_and_saveexec_b32 s1, s0
	s_cbranch_execz .LBB0_15
; %bb.14:
	s_delay_alu instid0(VALU_DEP_1)
	v_add_nc_u32_e32 v10, 0x400, v0
	ds_load_2addr_b32 v[8:9], v0 offset0:110 offset1:231
	ds_load_2addr_b32 v[10:11], v10 offset0:96 offset1:217
	ds_load_b32 v23, v0 offset:2376
	s_wait_dscnt 0x2
	v_lshrrev_b32_e32 v22, 16, v8
	v_lshrrev_b32_e32 v27, 16, v9
	s_wait_dscnt 0x1
	v_lshrrev_b32_e32 v26, 16, v10
	v_lshrrev_b32_e32 v25, 16, v11
	s_wait_dscnt 0x0
	v_lshrrev_b32_e32 v24, 16, v23
.LBB0_15:
	s_wait_alu 0xfffe
	s_or_b32 exec_lo, exec_lo, s1
	v_and_b32_e32 v28, 0xff, v7
	v_add_nc_u16 v29, v7, 55
	s_wait_dscnt 0x3
	v_lshrrev_b32_e32 v43, 16, v20
	s_wait_dscnt 0x2
	v_lshrrev_b32_e32 v44, 16, v18
	;; [unrolled: 2-line block ×3, first 2 shown]
	v_mul_lo_u16 v28, 0x75, v28
	v_and_b32_e32 v30, 0xff, v29
	s_wait_dscnt 0x0
	v_lshrrev_b32_e32 v46, 16, v14
	v_lshrrev_b32_e32 v42, 16, v15
	;; [unrolled: 1-line block ×3, first 2 shown]
	v_lshrrev_b16 v28, 8, v28
	v_mul_lo_u16 v30, 0x75, v30
	v_lshrrev_b32_e32 v48, 16, v19
	v_lshrrev_b32_e32 v49, 16, v17
	;; [unrolled: 1-line block ×3, first 2 shown]
	v_sub_nc_u16 v31, v7, v28
	v_lshrrev_b16 v30, 8, v30
	v_lshrrev_b32_e32 v41, 16, v13
	s_delay_alu instid0(VALU_DEP_3) | instskip(NEXT) | instid1(VALU_DEP_3)
	v_lshrrev_b16 v31, 1, v31
	v_sub_nc_u16 v32, v29, v30
	s_delay_alu instid0(VALU_DEP_2) | instskip(NEXT) | instid1(VALU_DEP_1)
	v_and_b32_e32 v31, 0x7f, v31
	v_add_nc_u16 v28, v31, v28
	s_delay_alu instid0(VALU_DEP_3) | instskip(NEXT) | instid1(VALU_DEP_2)
	v_lshrrev_b16 v31, 1, v32
	v_lshrrev_b16 v36, 3, v28
	s_delay_alu instid0(VALU_DEP_2) | instskip(NEXT) | instid1(VALU_DEP_2)
	v_and_b32_e32 v28, 0x7f, v31
	v_mul_lo_u16 v31, v36, 11
	s_delay_alu instid0(VALU_DEP_2) | instskip(SKIP_1) | instid1(VALU_DEP_3)
	v_add_nc_u16 v28, v28, v30
	v_and_b32_e32 v36, 0xffff, v36
	v_sub_nc_u16 v30, v7, v31
	s_delay_alu instid0(VALU_DEP_3) | instskip(NEXT) | instid1(VALU_DEP_3)
	v_lshrrev_b16 v37, 3, v28
	v_mul_u32_u24_e32 v36, 0xdc, v36
	s_delay_alu instid0(VALU_DEP_3) | instskip(NEXT) | instid1(VALU_DEP_3)
	v_and_b32_e32 v38, 0xff, v30
	v_mul_lo_u16 v28, v37, 11
	v_and_b32_e32 v37, 0xffff, v37
	s_delay_alu instid0(VALU_DEP_3) | instskip(NEXT) | instid1(VALU_DEP_3)
	v_lshlrev_b32_e32 v30, 4, v38
	v_sub_nc_u16 v32, v29, v28
	v_lshlrev_b32_e32 v38, 2, v38
	s_delay_alu instid0(VALU_DEP_4) | instskip(SKIP_3) | instid1(VALU_DEP_2)
	v_mul_u32_u24_e32 v37, 0xdc, v37
	global_load_b128 v[28:31], v30, s[8:9]
	v_and_b32_e32 v39, 0xff, v32
	v_add3_u32 v36, 0, v36, v38
	v_lshlrev_b32_e32 v32, 4, v39
	v_lshlrev_b32_e32 v39, 2, v39
	global_load_b128 v[32:35], v32, s[8:9]
	v_add3_u32 v37, 0, v37, v39
	global_wb scope:SCOPE_SE
	s_wait_loadcnt 0x0
	s_barrier_signal -1
	s_barrier_wait -1
	global_inv scope:SCOPE_SE
	v_lshrrev_b32_e32 v38, 16, v28
	v_lshrrev_b32_e32 v39, 16, v29
	;; [unrolled: 1-line block ×4, first 2 shown]
	s_delay_alu instid0(VALU_DEP_4)
	v_mul_f16_e32 v52, v38, v43
	v_mul_f16_e32 v38, v38, v20
	v_mul_f16_e32 v53, v39, v44
	v_mul_f16_e32 v39, v39, v18
	v_mul_f16_e32 v54, v50, v45
	v_mul_f16_e32 v50, v50, v16
	v_mul_f16_e32 v55, v51, v46
	v_mul_f16_e32 v51, v51, v14
	v_lshrrev_b32_e32 v56, 16, v32
	v_lshrrev_b32_e32 v57, 16, v33
	;; [unrolled: 1-line block ×4, first 2 shown]
	v_fma_f16 v20, v28, v20, -v52
	v_fmac_f16_e32 v38, v28, v43
	v_fma_f16 v18, v29, v18, -v53
	v_fmac_f16_e32 v39, v29, v44
	;; [unrolled: 2-line block ×4, first 2 shown]
	v_mul_f16_e32 v28, v56, v47
	v_mul_f16_e32 v29, v56, v21
	;; [unrolled: 1-line block ×8, first 2 shown]
	v_fma_f16 v21, v32, v21, -v28
	v_fmac_f16_e32 v29, v32, v47
	v_fma_f16 v19, v33, v19, -v30
	v_fmac_f16_e32 v31, v33, v48
	;; [unrolled: 2-line block ×4, first 2 shown]
	v_add_f16_e32 v28, v12, v20
	v_add_f16_e32 v30, v18, v16
	v_sub_f16_e32 v34, v20, v18
	v_sub_f16_e32 v35, v14, v16
	v_add_f16_e32 v42, v20, v14
	v_sub_f16_e32 v43, v18, v20
	v_sub_f16_e32 v45, v16, v14
	v_add_f16_e32 v47, v40, v38
	v_add_f16_e32 v48, v39, v50
	v_sub_f16_e32 v52, v38, v39
	v_sub_f16_e32 v53, v51, v50
	v_add_f16_e32 v54, v38, v51
	v_sub_f16_e32 v32, v38, v51
	v_sub_f16_e32 v33, v39, v50
	;; [unrolled: 1-line block ×6, first 2 shown]
	v_add_f16_e32 v18, v28, v18
	v_fma_f16 v28, -0.5, v30, v12
	v_add_f16_e32 v30, v34, v35
	v_fma_f16 v12, -0.5, v42, v12
	v_add_f16_e32 v34, v43, v45
	v_add_f16_e32 v35, v47, v39
	v_fma_f16 v39, -0.5, v48, v40
	v_add_f16_e32 v42, v52, v53
	v_add_f16_e32 v43, v13, v21
	;; [unrolled: 1-line block ×3, first 2 shown]
	v_sub_f16_e32 v52, v21, v19
	v_sub_f16_e32 v53, v15, v17
	v_add_f16_e32 v58, v31, v44
	v_fmac_f16_e32 v40, -0.5, v54
	v_add_f16_e32 v54, v21, v15
	v_add_f16_e32 v62, v29, v46
	;; [unrolled: 1-line block ×3, first 2 shown]
	v_sub_f16_e32 v47, v29, v46
	v_sub_f16_e32 v55, v19, v21
	v_add_f16_e32 v57, v41, v29
	v_sub_f16_e32 v21, v21, v15
	v_sub_f16_e32 v59, v19, v17
	v_add_f16_e32 v16, v18, v16
	v_fmamk_f16 v18, v32, 0x3b9c, v28
	v_fmamk_f16 v64, v33, 0xbb9c, v12
	v_fmac_f16_e32 v12, 0x3b9c, v33
	v_add_f16_e32 v35, v35, v50
	v_fmamk_f16 v50, v20, 0xbb9c, v39
	v_add_f16_e32 v19, v43, v19
	v_fma_f16 v43, -0.5, v45, v13
	v_add_f16_e32 v45, v52, v53
	v_fma_f16 v53, -0.5, v58, v41
	v_sub_f16_e32 v48, v31, v44
	v_fmac_f16_e32 v28, 0xbb9c, v32
	v_fmamk_f16 v65, v49, 0x3b9c, v40
	v_fmac_f16_e32 v40, 0xbb9c, v49
	v_fmac_f16_e32 v13, -0.5, v54
	v_fmac_f16_e32 v41, -0.5, v62
	v_fmac_f16_e32 v39, 0x3b9c, v20
	v_sub_f16_e32 v56, v17, v15
	v_sub_f16_e32 v60, v29, v31
	;; [unrolled: 1-line block ×4, first 2 shown]
	v_add_f16_e32 v31, v57, v31
	v_fmac_f16_e32 v18, 0x38b4, v33
	v_fmac_f16_e32 v64, 0x38b4, v32
	;; [unrolled: 1-line block ×4, first 2 shown]
	v_add_f16_e32 v17, v19, v17
	v_fmamk_f16 v19, v47, 0x3b9c, v43
	v_fmamk_f16 v32, v21, 0xbb9c, v53
	v_sub_f16_e32 v63, v44, v46
	v_fmac_f16_e32 v28, 0xb8b4, v33
	v_fmac_f16_e32 v65, 0xb8b4, v20
	;; [unrolled: 1-line block ×3, first 2 shown]
	v_fmamk_f16 v20, v48, 0xbb9c, v13
	v_fmac_f16_e32 v13, 0x3b9c, v48
	v_fmamk_f16 v33, v59, 0x3b9c, v41
	v_fmac_f16_e32 v41, 0xbb9c, v59
	v_fmac_f16_e32 v43, 0xbb9c, v47
	;; [unrolled: 1-line block ×4, first 2 shown]
	v_add_f16_e32 v54, v60, v61
	v_add_f16_e32 v14, v16, v14
	;; [unrolled: 1-line block ×4, first 2 shown]
	v_fmac_f16_e32 v18, 0x34f2, v30
	v_fmac_f16_e32 v50, 0x34f2, v42
	;; [unrolled: 1-line block ×4, first 2 shown]
	v_add_f16_e32 v52, v55, v56
	v_add_f16_e32 v29, v29, v63
	v_fmac_f16_e32 v20, 0x38b4, v47
	v_fmac_f16_e32 v13, 0xb8b4, v47
	;; [unrolled: 1-line block ×12, first 2 shown]
	v_add_f16_e32 v15, v17, v15
	v_add_f16_e32 v17, v31, v46
	v_pack_b32_f16 v14, v14, v16
	v_fmac_f16_e32 v19, 0x34f2, v45
	v_fmac_f16_e32 v32, 0x34f2, v54
	v_pack_b32_f16 v16, v18, v50
	v_fmac_f16_e32 v20, 0x34f2, v52
	v_fmac_f16_e32 v13, 0x34f2, v52
	v_fmac_f16_e32 v33, 0x34f2, v29
	v_fmac_f16_e32 v41, 0x34f2, v29
	v_fmac_f16_e32 v43, 0x34f2, v45
	v_fmac_f16_e32 v53, 0x34f2, v54
	v_pack_b32_f16 v18, v64, v65
	v_pack_b32_f16 v12, v12, v40
	;; [unrolled: 1-line block ×4, first 2 shown]
	ds_store_2addr_b32 v36, v14, v16 offset1:11
	v_pack_b32_f16 v14, v19, v32
	v_pack_b32_f16 v16, v20, v33
	;; [unrolled: 1-line block ×4, first 2 shown]
	ds_store_2addr_b32 v36, v18, v12 offset0:22 offset1:33
	ds_store_b32 v36, v21 offset:176
	ds_store_2addr_b32 v37, v15, v14 offset1:11
	ds_store_2addr_b32 v37, v16, v13 offset0:22 offset1:33
	ds_store_b32 v37, v17 offset:176
	s_and_saveexec_b32 s1, s0
	s_cbranch_execz .LBB0_17
; %bb.16:
	v_add_nc_u16 v12, v7, 0x6e
	s_delay_alu instid0(VALU_DEP_1) | instskip(NEXT) | instid1(VALU_DEP_1)
	v_and_b32_e32 v13, 0xff, v12
	v_mul_lo_u16 v13, 0x75, v13
	s_delay_alu instid0(VALU_DEP_1) | instskip(NEXT) | instid1(VALU_DEP_1)
	v_lshrrev_b16 v13, 8, v13
	v_sub_nc_u16 v14, v12, v13
	s_delay_alu instid0(VALU_DEP_1) | instskip(NEXT) | instid1(VALU_DEP_1)
	v_lshrrev_b16 v14, 1, v14
	v_and_b32_e32 v14, 0x7f, v14
	s_delay_alu instid0(VALU_DEP_1) | instskip(NEXT) | instid1(VALU_DEP_1)
	v_add_nc_u16 v13, v14, v13
	v_lshrrev_b16 v13, 3, v13
	s_delay_alu instid0(VALU_DEP_1) | instskip(NEXT) | instid1(VALU_DEP_1)
	v_mul_lo_u16 v13, v13, 11
	v_sub_nc_u16 v12, v12, v13
	s_delay_alu instid0(VALU_DEP_1) | instskip(NEXT) | instid1(VALU_DEP_1)
	v_and_b32_e32 v16, 0xff, v12
	v_lshlrev_b32_e32 v12, 4, v16
	v_lshl_add_u32 v16, v16, 2, 0
	global_load_b128 v[12:15], v12, s[8:9]
	v_add_nc_u32_e32 v21, 0x800, v16
	s_wait_loadcnt 0x0
	v_lshrrev_b32_e32 v17, 16, v13
	v_lshrrev_b32_e32 v18, 16, v12
	;; [unrolled: 1-line block ×4, first 2 shown]
	s_delay_alu instid0(VALU_DEP_4) | instskip(NEXT) | instid1(VALU_DEP_4)
	v_mul_f16_e32 v28, v10, v17
	v_mul_f16_e32 v29, v9, v18
	s_delay_alu instid0(VALU_DEP_4) | instskip(NEXT) | instid1(VALU_DEP_4)
	v_mul_f16_e32 v30, v11, v19
	v_mul_f16_e32 v31, v23, v20
	;; [unrolled: 1-line block ×6, first 2 shown]
	v_fmac_f16_e32 v28, v26, v13
	v_fmac_f16_e32 v29, v27, v12
	;; [unrolled: 1-line block ×4, first 2 shown]
	v_fma_f16 v9, v9, v12, -v18
	v_fma_f16 v12, v23, v15, -v20
	;; [unrolled: 1-line block ×4, first 2 shown]
	v_sub_f16_e32 v13, v28, v29
	v_sub_f16_e32 v14, v30, v31
	v_add_f16_e32 v17, v29, v31
	v_sub_f16_e32 v19, v29, v28
	v_sub_f16_e32 v20, v31, v30
	v_add_f16_e32 v23, v28, v30
	v_add_f16_e32 v27, v9, v12
	v_add_f16_e32 v35, v10, v11
	v_sub_f16_e32 v15, v9, v12
	v_add_f16_e32 v24, v22, v29
	v_sub_f16_e32 v25, v10, v9
	v_sub_f16_e32 v26, v11, v12
	;; [unrolled: 1-line block ×4, first 2 shown]
	v_add_f16_e32 v9, v8, v9
	v_add_f16_e32 v13, v13, v14
	v_fma_f16 v14, -0.5, v17, v22
	v_add_f16_e32 v17, v19, v20
	v_fma_f16 v19, -0.5, v23, v22
	v_fma_f16 v23, -0.5, v27, v8
	;; [unrolled: 1-line block ×3, first 2 shown]
	v_sub_f16_e32 v18, v10, v11
	v_sub_f16_e32 v32, v28, v30
	;; [unrolled: 1-line block ×3, first 2 shown]
	v_add_f16_e32 v20, v24, v28
	v_add_f16_e32 v22, v25, v26
	;; [unrolled: 1-line block ×3, first 2 shown]
	v_fmamk_f16 v25, v15, 0x3b9c, v19
	v_fmac_f16_e32 v19, 0xbb9c, v15
	v_fmamk_f16 v27, v29, 0xbb9c, v8
	v_fmac_f16_e32 v8, 0x3b9c, v29
	;; [unrolled: 2-line block ×4, first 2 shown]
	v_add_f16_e32 v24, v33, v34
	v_add_f16_e32 v20, v20, v30
	v_add_f16_e32 v9, v9, v11
	v_fmac_f16_e32 v19, 0xb8b4, v18
	v_fmac_f16_e32 v8, 0x38b4, v32
	;; [unrolled: 1-line block ×8, first 2 shown]
	v_add_f16_e32 v11, v20, v31
	v_add_f16_e32 v9, v9, v12
	v_fmac_f16_e32 v19, 0x34f2, v17
	v_fmac_f16_e32 v8, 0x34f2, v24
	;; [unrolled: 1-line block ×8, first 2 shown]
	v_pack_b32_f16 v9, v9, v11
	v_pack_b32_f16 v8, v8, v19
	;; [unrolled: 1-line block ×5, first 2 shown]
	ds_store_2addr_b32 v21, v9, v8 offset0:38 offset1:49
	ds_store_2addr_b32 v21, v11, v10 offset0:60 offset1:71
	ds_store_b32 v16, v12 offset:2376
.LBB0_17:
	s_wait_alu 0xfffe
	s_or_b32 exec_lo, exec_lo, s1
	global_wb scope:SCOPE_SE
	s_wait_dscnt 0x0
	s_barrier_signal -1
	s_barrier_wait -1
	global_inv scope:SCOPE_SE
	s_and_saveexec_b32 s0, vcc_lo
	s_cbranch_execz .LBB0_19
; %bb.18:
	v_mul_u32_u24_e32 v8, 10, v7
	v_mul_lo_u32 v22, s3, v5
	v_mul_lo_u32 v23, s2, v6
	v_mad_co_u64_u32 v[18:19], null, s2, v5, 0
	s_delay_alu instid0(VALU_DEP_4)
	v_lshlrev_b32_e32 v12, 2, v8
	v_add_nc_u32_e32 v24, 0x600, v0
	v_lshl_add_u32 v7, v7, 2, 0
	s_clause 0x2
	global_load_b128 v[8:11], v12, s[8:9] offset:176
	global_load_b64 v[16:17], v12, s[8:9] offset:208
	global_load_b128 v[12:15], v12, s[8:9] offset:192
	ds_load_2addr_b32 v[5:6], v0 offset1:55
	ds_load_2addr_b32 v[20:21], v0 offset0:165 offset1:220
	v_add_nc_u32_e32 v0, 0x400, v0
	v_add3_u32 v19, v19, v23, v22
	ds_load_2addr_b32 v[22:23], v24 offset0:111 offset1:166
	ds_load_b32 v7, v7 offset:440
	ds_load_2addr_b32 v[24:25], v0 offset0:129 offset1:184
	ds_load_2addr_b32 v[26:27], v0 offset0:19 offset1:74
	v_lshlrev_b64_e32 v[18:19], 2, v[18:19]
	v_lshlrev_b64_e32 v[0:1], 2, v[1:2]
	;; [unrolled: 1-line block ×3, first 2 shown]
	s_delay_alu instid0(VALU_DEP_3) | instskip(SKIP_1) | instid1(VALU_DEP_4)
	v_add_co_u32 v4, vcc_lo, s6, v18
	s_wait_alu 0xfffd
	v_add_co_ci_u32_e32 v18, vcc_lo, s7, v19, vcc_lo
	s_delay_alu instid0(VALU_DEP_2)
	v_add_co_u32 v0, vcc_lo, v4, v0
	s_wait_dscnt 0x5
	v_lshrrev_b32_e32 v19, 16, v6
	s_wait_alu 0xfffd
	v_add_co_ci_u32_e32 v1, vcc_lo, v18, v1, vcc_lo
	s_wait_dscnt 0x3
	v_lshrrev_b32_e32 v4, 16, v23
	v_lshrrev_b32_e32 v29, 16, v20
	s_wait_dscnt 0x2
	v_lshrrev_b32_e32 v18, 16, v7
	v_lshrrev_b32_e32 v31, 16, v22
	s_wait_dscnt 0x0
	v_lshrrev_b32_e32 v34, 16, v26
	v_add_co_u32 v0, vcc_lo, v0, v2
	v_lshrrev_b32_e32 v28, 16, v5
	s_wait_alu 0xfffd
	v_add_co_ci_u32_e32 v1, vcc_lo, v1, v3, vcc_lo
	v_lshrrev_b32_e32 v30, 16, v21
	v_lshrrev_b32_e32 v32, 16, v25
	;; [unrolled: 1-line block ×4, first 2 shown]
	s_wait_loadcnt 0x2
	v_lshrrev_b32_e32 v36, 16, v8
	s_wait_loadcnt 0x1
	v_lshrrev_b32_e32 v41, 16, v17
	v_lshrrev_b32_e32 v37, 16, v9
	;; [unrolled: 1-line block ×4, first 2 shown]
	v_mul_f16_e32 v2, v17, v4
	v_mul_f16_e32 v42, v8, v19
	s_wait_loadcnt 0x0
	v_lshrrev_b32_e32 v44, 16, v12
	v_mul_f16_e32 v19, v36, v19
	v_mul_f16_e32 v4, v41, v4
	;; [unrolled: 1-line block ×6, first 2 shown]
	v_fmac_f16_e32 v42, v36, v6
	v_mul_f16_e32 v18, v37, v18
	v_mul_f16_e32 v31, v40, v31
	;; [unrolled: 1-line block ×4, first 2 shown]
	v_fma_f16 v6, v8, v6, -v19
	v_fma_f16 v4, v17, v23, -v4
	v_lshrrev_b32_e32 v39, 16, v11
	v_fmac_f16_e32 v3, v22, v40
	v_fmac_f16_e32 v43, v37, v7
	;; [unrolled: 1-line block ×3, first 2 shown]
	v_fma_f16 v7, v9, v7, -v18
	v_fma_f16 v9, v16, v22, -v31
	;; [unrolled: 1-line block ×4, first 2 shown]
	v_add_f16_e32 v22, v42, v28
	v_sub_f16_e32 v26, v6, v4
	v_add_f16_e32 v29, v6, v4
	v_add_f16_e32 v6, v6, v5
	v_lshrrev_b32_e32 v45, 16, v13
	v_lshrrev_b32_e32 v46, 16, v14
	;; [unrolled: 1-line block ×3, first 2 shown]
	v_mul_f16_e32 v48, v15, v32
	v_mul_f16_e32 v50, v14, v33
	;; [unrolled: 1-line block ×4, first 2 shown]
	v_fmac_f16_e32 v2, v23, v41
	v_fmac_f16_e32 v49, v38, v20
	v_mul_f16_e32 v30, v39, v30
	v_add_f16_e32 v22, v22, v43
	v_add_f16_e32 v6, v6, v7
	v_mul_f16_e32 v32, v47, v32
	v_fmac_f16_e32 v48, v25, v47
	v_mul_f16_e32 v33, v46, v33
	v_fmac_f16_e32 v50, v24, v46
	v_fmac_f16_e32 v51, v39, v21
	v_mul_f16_e32 v35, v45, v35
	v_fmac_f16_e32 v52, v27, v45
	v_sub_f16_e32 v17, v42, v2
	v_fma_f16 v11, v11, v21, -v30
	v_add_f16_e32 v22, v22, v49
	v_add_f16_e32 v6, v6, v10
	v_fma_f16 v15, v15, v25, -v32
	v_fma_f16 v14, v14, v24, -v33
	;; [unrolled: 1-line block ×3, first 2 shown]
	v_sub_f16_e32 v18, v43, v3
	v_sub_f16_e32 v19, v49, v48
	;; [unrolled: 1-line block ×4, first 2 shown]
	v_mul_f16_e32 v30, 0xb482, v17
	v_mul_f16_e32 v39, 0xba0c, v17
	;; [unrolled: 1-line block ×5, first 2 shown]
	v_add_f16_e32 v22, v22, v51
	v_add_f16_e32 v6, v6, v11
	;; [unrolled: 1-line block ×4, first 2 shown]
	v_sub_f16_e32 v27, v7, v9
	v_add_f16_e32 v31, v7, v9
	v_mul_f16_e32 v32, 0x3853, v18
	v_add_f16_e32 v33, v10, v15
	v_mul_f16_e32 v34, 0xba0c, v19
	;; [unrolled: 2-line block ×4, first 2 shown]
	v_mul_f16_e32 v40, 0x3beb, v18
	v_mul_f16_e32 v41, 0xb853, v19
	;; [unrolled: 1-line block ×16, first 2 shown]
	v_sub_f16_e32 v43, v10, v15
	v_sub_f16_e32 v61, v11, v14
	;; [unrolled: 1-line block ×3, first 2 shown]
	v_mul_f16_e32 v63, 0xb482, v26
	v_fma_f16 v65, v29, 0xbbad, -v30
	v_mul_f16_e32 v70, 0xba0c, v26
	v_fma_f16 v71, v29, 0xb93d, -v39
	;; [unrolled: 2-line block ×3, first 2 shown]
	v_mul_f16_e32 v82, 0xbb47, v26
	v_mul_f16_e32 v26, 0xb853, v26
	v_fmac_f16_e32 v30, 0xbbad, v29
	v_fmac_f16_e32 v39, 0xb93d, v29
	;; [unrolled: 1-line block ×3, first 2 shown]
	v_fma_f16 v83, v29, 0x36a6, -v56
	v_fma_f16 v88, v29, 0x3abb, -v17
	v_fmac_f16_e32 v56, 0x36a6, v29
	v_fmac_f16_e32 v17, 0x3abb, v29
	v_add_f16_e32 v11, v22, v53
	v_add_f16_e32 v6, v6, v12
	;; [unrolled: 1-line block ×5, first 2 shown]
	v_mul_f16_e32 v64, 0x3853, v27
	v_fma_f16 v66, v31, 0x3abb, -v32
	v_fma_f16 v67, v33, 0xb93d, -v34
	;; [unrolled: 1-line block ×19, first 2 shown]
	v_fmac_f16_e32 v32, 0x3abb, v31
	v_fmac_f16_e32 v40, 0xb08e, v31
	;; [unrolled: 1-line block ×5, first 2 shown]
	v_fma_f16 v31, v37, 0xbbad, -v21
	v_fmac_f16_e32 v34, 0xb93d, v33
	v_fmac_f16_e32 v36, 0x36a6, v35
	;; [unrolled: 1-line block ×15, first 2 shown]
	v_mul_f16_e32 v33, 0x3beb, v27
	v_mul_f16_e32 v35, 0x3482, v27
	;; [unrolled: 1-line block ×19, first 2 shown]
	v_fmamk_f16 v101, v8, 0xbbad, v63
	v_add_f16_e32 v65, v65, v5
	v_fmamk_f16 v102, v8, 0xb93d, v70
	v_add_f16_e32 v71, v71, v5
	;; [unrolled: 2-line block ×3, first 2 shown]
	v_add_f16_e32 v30, v30, v5
	v_add_f16_e32 v39, v39, v5
	;; [unrolled: 1-line block ×3, first 2 shown]
	v_fmamk_f16 v104, v8, 0x3abb, v26
	v_add_f16_e32 v83, v83, v5
	v_add_f16_e32 v88, v88, v5
	;; [unrolled: 1-line block ×4, first 2 shown]
	v_fmamk_f16 v17, v8, 0x36a6, v82
	v_fma_f16 v63, v8, 0xbbad, -v63
	v_fma_f16 v70, v8, 0xb93d, -v70
	;; [unrolled: 1-line block ×5, first 2 shown]
	v_add_f16_e32 v11, v11, v52
	v_add_f16_e32 v6, v6, v13
	v_fmamk_f16 v26, v16, 0x3abb, v64
	v_fma_f16 v64, v16, 0x3abb, -v64
	v_fmamk_f16 v105, v16, 0xb08e, v33
	v_fma_f16 v33, v16, 0xb08e, -v33
	;; [unrolled: 2-line block ×20, first 2 shown]
	v_add_f16_e32 v62, v65, v66
	v_add_f16_e32 v65, v71, v72
	;; [unrolled: 1-line block ×98, first 2 shown]
	v_pack_b32_f16 v2, v4, v2
	v_pack_b32_f16 v3, v7, v21
	;; [unrolled: 1-line block ×11, first 2 shown]
	s_clause 0xa
	global_store_b32 v[0:1], v2, off
	global_store_b32 v[0:1], v3, off offset:220
	global_store_b32 v[0:1], v7, off offset:440
	;; [unrolled: 1-line block ×10, first 2 shown]
.LBB0_19:
	s_nop 0
	s_sendmsg sendmsg(MSG_DEALLOC_VGPRS)
	s_endpgm
	.section	.rodata,"a",@progbits
	.p2align	6, 0x0
	.amdhsa_kernel fft_rtc_fwd_len605_factors_11_5_11_wgs_55_tpt_55_half_op_CI_CI_unitstride_sbrr_dirReg
		.amdhsa_group_segment_fixed_size 0
		.amdhsa_private_segment_fixed_size 0
		.amdhsa_kernarg_size 104
		.amdhsa_user_sgpr_count 2
		.amdhsa_user_sgpr_dispatch_ptr 0
		.amdhsa_user_sgpr_queue_ptr 0
		.amdhsa_user_sgpr_kernarg_segment_ptr 1
		.amdhsa_user_sgpr_dispatch_id 0
		.amdhsa_user_sgpr_private_segment_size 0
		.amdhsa_wavefront_size32 1
		.amdhsa_uses_dynamic_stack 0
		.amdhsa_enable_private_segment 0
		.amdhsa_system_sgpr_workgroup_id_x 1
		.amdhsa_system_sgpr_workgroup_id_y 0
		.amdhsa_system_sgpr_workgroup_id_z 0
		.amdhsa_system_sgpr_workgroup_info 0
		.amdhsa_system_vgpr_workitem_id 0
		.amdhsa_next_free_vgpr 119
		.amdhsa_next_free_sgpr 39
		.amdhsa_reserve_vcc 1
		.amdhsa_float_round_mode_32 0
		.amdhsa_float_round_mode_16_64 0
		.amdhsa_float_denorm_mode_32 3
		.amdhsa_float_denorm_mode_16_64 3
		.amdhsa_fp16_overflow 0
		.amdhsa_workgroup_processor_mode 1
		.amdhsa_memory_ordered 1
		.amdhsa_forward_progress 0
		.amdhsa_round_robin_scheduling 0
		.amdhsa_exception_fp_ieee_invalid_op 0
		.amdhsa_exception_fp_denorm_src 0
		.amdhsa_exception_fp_ieee_div_zero 0
		.amdhsa_exception_fp_ieee_overflow 0
		.amdhsa_exception_fp_ieee_underflow 0
		.amdhsa_exception_fp_ieee_inexact 0
		.amdhsa_exception_int_div_zero 0
	.end_amdhsa_kernel
	.text
.Lfunc_end0:
	.size	fft_rtc_fwd_len605_factors_11_5_11_wgs_55_tpt_55_half_op_CI_CI_unitstride_sbrr_dirReg, .Lfunc_end0-fft_rtc_fwd_len605_factors_11_5_11_wgs_55_tpt_55_half_op_CI_CI_unitstride_sbrr_dirReg
                                        ; -- End function
	.section	.AMDGPU.csdata,"",@progbits
; Kernel info:
; codeLenInByte = 8828
; NumSgprs: 41
; NumVgprs: 119
; ScratchSize: 0
; MemoryBound: 0
; FloatMode: 240
; IeeeMode: 1
; LDSByteSize: 0 bytes/workgroup (compile time only)
; SGPRBlocks: 5
; VGPRBlocks: 14
; NumSGPRsForWavesPerEU: 41
; NumVGPRsForWavesPerEU: 119
; Occupancy: 12
; WaveLimiterHint : 1
; COMPUTE_PGM_RSRC2:SCRATCH_EN: 0
; COMPUTE_PGM_RSRC2:USER_SGPR: 2
; COMPUTE_PGM_RSRC2:TRAP_HANDLER: 0
; COMPUTE_PGM_RSRC2:TGID_X_EN: 1
; COMPUTE_PGM_RSRC2:TGID_Y_EN: 0
; COMPUTE_PGM_RSRC2:TGID_Z_EN: 0
; COMPUTE_PGM_RSRC2:TIDIG_COMP_CNT: 0
	.text
	.p2alignl 7, 3214868480
	.fill 96, 4, 3214868480
	.type	__hip_cuid_ed604c817b8c4148,@object ; @__hip_cuid_ed604c817b8c4148
	.section	.bss,"aw",@nobits
	.globl	__hip_cuid_ed604c817b8c4148
__hip_cuid_ed604c817b8c4148:
	.byte	0                               ; 0x0
	.size	__hip_cuid_ed604c817b8c4148, 1

	.ident	"AMD clang version 19.0.0git (https://github.com/RadeonOpenCompute/llvm-project roc-6.4.0 25133 c7fe45cf4b819c5991fe208aaa96edf142730f1d)"
	.section	".note.GNU-stack","",@progbits
	.addrsig
	.addrsig_sym __hip_cuid_ed604c817b8c4148
	.amdgpu_metadata
---
amdhsa.kernels:
  - .args:
      - .actual_access:  read_only
        .address_space:  global
        .offset:         0
        .size:           8
        .value_kind:     global_buffer
      - .offset:         8
        .size:           8
        .value_kind:     by_value
      - .actual_access:  read_only
        .address_space:  global
        .offset:         16
        .size:           8
        .value_kind:     global_buffer
      - .actual_access:  read_only
        .address_space:  global
        .offset:         24
        .size:           8
        .value_kind:     global_buffer
      - .actual_access:  read_only
        .address_space:  global
        .offset:         32
        .size:           8
        .value_kind:     global_buffer
      - .offset:         40
        .size:           8
        .value_kind:     by_value
      - .actual_access:  read_only
        .address_space:  global
        .offset:         48
        .size:           8
        .value_kind:     global_buffer
      - .actual_access:  read_only
        .address_space:  global
        .offset:         56
        .size:           8
        .value_kind:     global_buffer
      - .offset:         64
        .size:           4
        .value_kind:     by_value
      - .actual_access:  read_only
        .address_space:  global
        .offset:         72
        .size:           8
        .value_kind:     global_buffer
      - .actual_access:  read_only
        .address_space:  global
        .offset:         80
        .size:           8
        .value_kind:     global_buffer
      - .actual_access:  read_only
        .address_space:  global
        .offset:         88
        .size:           8
        .value_kind:     global_buffer
      - .actual_access:  write_only
        .address_space:  global
        .offset:         96
        .size:           8
        .value_kind:     global_buffer
    .group_segment_fixed_size: 0
    .kernarg_segment_align: 8
    .kernarg_segment_size: 104
    .language:       OpenCL C
    .language_version:
      - 2
      - 0
    .max_flat_workgroup_size: 55
    .name:           fft_rtc_fwd_len605_factors_11_5_11_wgs_55_tpt_55_half_op_CI_CI_unitstride_sbrr_dirReg
    .private_segment_fixed_size: 0
    .sgpr_count:     41
    .sgpr_spill_count: 0
    .symbol:         fft_rtc_fwd_len605_factors_11_5_11_wgs_55_tpt_55_half_op_CI_CI_unitstride_sbrr_dirReg.kd
    .uniform_work_group_size: 1
    .uses_dynamic_stack: false
    .vgpr_count:     119
    .vgpr_spill_count: 0
    .wavefront_size: 32
    .workgroup_processor_mode: 1
amdhsa.target:   amdgcn-amd-amdhsa--gfx1201
amdhsa.version:
  - 1
  - 2
...

	.end_amdgpu_metadata
